;; amdgpu-corpus repo=ROCm/rocFFT kind=compiled arch=gfx906 opt=O3
	.text
	.amdgcn_target "amdgcn-amd-amdhsa--gfx906"
	.amdhsa_code_object_version 6
	.protected	fft_rtc_back_len110_factors_2_5_11_wgs_198_tpt_11_dp_ip_CI_sbrr_dirReg ; -- Begin function fft_rtc_back_len110_factors_2_5_11_wgs_198_tpt_11_dp_ip_CI_sbrr_dirReg
	.globl	fft_rtc_back_len110_factors_2_5_11_wgs_198_tpt_11_dp_ip_CI_sbrr_dirReg
	.p2align	8
	.type	fft_rtc_back_len110_factors_2_5_11_wgs_198_tpt_11_dp_ip_CI_sbrr_dirReg,@function
fft_rtc_back_len110_factors_2_5_11_wgs_198_tpt_11_dp_ip_CI_sbrr_dirReg: ; @fft_rtc_back_len110_factors_2_5_11_wgs_198_tpt_11_dp_ip_CI_sbrr_dirReg
; %bb.0:
	s_load_dwordx2 s[14:15], s[4:5], 0x18
	s_load_dwordx4 s[8:11], s[4:5], 0x0
	s_load_dwordx2 s[12:13], s[4:5], 0x50
	v_mul_u32_u24_e32 v1, 0x1746, v0
	v_lshrrev_b32_e32 v1, 16, v1
	v_mad_u64_u32 v[40:41], s[0:1], s6, 18, v[1:2]
	s_waitcnt lgkmcnt(0)
	s_load_dwordx2 s[2:3], s[14:15], 0x0
	v_mov_b32_e32 v3, 0
	v_cmp_lt_u64_e64 s[0:1], s[10:11], 2
	v_mov_b32_e32 v41, v3
	v_mov_b32_e32 v1, 0
	;; [unrolled: 1-line block ×3, first 2 shown]
	s_and_b64 vcc, exec, s[0:1]
	v_mov_b32_e32 v2, 0
	v_mov_b32_e32 v8, v41
	s_cbranch_vccnz .LBB0_8
; %bb.1:
	s_load_dwordx2 s[0:1], s[4:5], 0x10
	s_add_u32 s6, s14, 8
	s_addc_u32 s7, s15, 0
	v_mov_b32_e32 v1, 0
	v_mov_b32_e32 v5, v40
	s_waitcnt lgkmcnt(0)
	s_add_u32 s18, s0, 8
	s_mov_b64 s[16:17], 1
	v_mov_b32_e32 v2, 0
	s_addc_u32 s19, s1, 0
	v_mov_b32_e32 v6, v41
.LBB0_2:                                ; =>This Inner Loop Header: Depth=1
	s_load_dwordx2 s[20:21], s[18:19], 0x0
                                        ; implicit-def: $vgpr7_vgpr8
	s_waitcnt lgkmcnt(0)
	v_or_b32_e32 v4, s21, v6
	v_cmp_ne_u64_e32 vcc, 0, v[3:4]
	s_and_saveexec_b64 s[0:1], vcc
	s_xor_b64 s[22:23], exec, s[0:1]
	s_cbranch_execz .LBB0_4
; %bb.3:                                ;   in Loop: Header=BB0_2 Depth=1
	v_cvt_f32_u32_e32 v4, s20
	v_cvt_f32_u32_e32 v7, s21
	s_sub_u32 s0, 0, s20
	s_subb_u32 s1, 0, s21
	v_mac_f32_e32 v4, 0x4f800000, v7
	v_rcp_f32_e32 v4, v4
	v_mul_f32_e32 v4, 0x5f7ffffc, v4
	v_mul_f32_e32 v7, 0x2f800000, v4
	v_trunc_f32_e32 v7, v7
	v_mac_f32_e32 v4, 0xcf800000, v7
	v_cvt_u32_f32_e32 v7, v7
	v_cvt_u32_f32_e32 v4, v4
	v_mul_lo_u32 v8, s0, v7
	v_mul_hi_u32 v9, s0, v4
	v_mul_lo_u32 v11, s1, v4
	v_mul_lo_u32 v10, s0, v4
	v_add_u32_e32 v8, v9, v8
	v_add_u32_e32 v8, v8, v11
	v_mul_hi_u32 v9, v4, v10
	v_mul_lo_u32 v11, v4, v8
	v_mul_hi_u32 v13, v4, v8
	v_mul_hi_u32 v12, v7, v10
	v_mul_lo_u32 v10, v7, v10
	v_mul_hi_u32 v14, v7, v8
	v_add_co_u32_e32 v9, vcc, v9, v11
	v_addc_co_u32_e32 v11, vcc, 0, v13, vcc
	v_mul_lo_u32 v8, v7, v8
	v_add_co_u32_e32 v9, vcc, v9, v10
	v_addc_co_u32_e32 v9, vcc, v11, v12, vcc
	v_addc_co_u32_e32 v10, vcc, 0, v14, vcc
	v_add_co_u32_e32 v8, vcc, v9, v8
	v_addc_co_u32_e32 v9, vcc, 0, v10, vcc
	v_add_co_u32_e32 v4, vcc, v4, v8
	v_addc_co_u32_e32 v7, vcc, v7, v9, vcc
	v_mul_lo_u32 v8, s0, v7
	v_mul_hi_u32 v9, s0, v4
	v_mul_lo_u32 v10, s1, v4
	v_mul_lo_u32 v11, s0, v4
	v_add_u32_e32 v8, v9, v8
	v_add_u32_e32 v8, v8, v10
	v_mul_lo_u32 v12, v4, v8
	v_mul_hi_u32 v13, v4, v11
	v_mul_hi_u32 v14, v4, v8
	;; [unrolled: 1-line block ×3, first 2 shown]
	v_mul_lo_u32 v11, v7, v11
	v_mul_hi_u32 v9, v7, v8
	v_add_co_u32_e32 v12, vcc, v13, v12
	v_addc_co_u32_e32 v13, vcc, 0, v14, vcc
	v_mul_lo_u32 v8, v7, v8
	v_add_co_u32_e32 v11, vcc, v12, v11
	v_addc_co_u32_e32 v10, vcc, v13, v10, vcc
	v_addc_co_u32_e32 v9, vcc, 0, v9, vcc
	v_add_co_u32_e32 v8, vcc, v10, v8
	v_addc_co_u32_e32 v9, vcc, 0, v9, vcc
	v_add_co_u32_e32 v4, vcc, v4, v8
	v_addc_co_u32_e32 v9, vcc, v7, v9, vcc
	v_mad_u64_u32 v[7:8], s[0:1], v5, v9, 0
	v_mul_hi_u32 v10, v5, v4
	v_add_co_u32_e32 v11, vcc, v10, v7
	v_addc_co_u32_e32 v12, vcc, 0, v8, vcc
	v_mad_u64_u32 v[7:8], s[0:1], v6, v4, 0
	v_mad_u64_u32 v[9:10], s[0:1], v6, v9, 0
	v_add_co_u32_e32 v4, vcc, v11, v7
	v_addc_co_u32_e32 v4, vcc, v12, v8, vcc
	v_addc_co_u32_e32 v7, vcc, 0, v10, vcc
	v_add_co_u32_e32 v4, vcc, v4, v9
	v_addc_co_u32_e32 v9, vcc, 0, v7, vcc
	v_mul_lo_u32 v10, s21, v4
	v_mul_lo_u32 v11, s20, v9
	v_mad_u64_u32 v[7:8], s[0:1], s20, v4, 0
	v_add3_u32 v8, v8, v11, v10
	v_sub_u32_e32 v10, v6, v8
	v_mov_b32_e32 v11, s21
	v_sub_co_u32_e32 v7, vcc, v5, v7
	v_subb_co_u32_e64 v10, s[0:1], v10, v11, vcc
	v_subrev_co_u32_e64 v11, s[0:1], s20, v7
	v_subbrev_co_u32_e64 v10, s[0:1], 0, v10, s[0:1]
	v_cmp_le_u32_e64 s[0:1], s21, v10
	v_cndmask_b32_e64 v12, 0, -1, s[0:1]
	v_cmp_le_u32_e64 s[0:1], s20, v11
	v_cndmask_b32_e64 v11, 0, -1, s[0:1]
	v_cmp_eq_u32_e64 s[0:1], s21, v10
	v_cndmask_b32_e64 v10, v12, v11, s[0:1]
	v_add_co_u32_e64 v11, s[0:1], 2, v4
	v_addc_co_u32_e64 v12, s[0:1], 0, v9, s[0:1]
	v_add_co_u32_e64 v13, s[0:1], 1, v4
	v_addc_co_u32_e64 v14, s[0:1], 0, v9, s[0:1]
	v_subb_co_u32_e32 v8, vcc, v6, v8, vcc
	v_cmp_ne_u32_e64 s[0:1], 0, v10
	v_cmp_le_u32_e32 vcc, s21, v8
	v_cndmask_b32_e64 v10, v14, v12, s[0:1]
	v_cndmask_b32_e64 v12, 0, -1, vcc
	v_cmp_le_u32_e32 vcc, s20, v7
	v_cndmask_b32_e64 v7, 0, -1, vcc
	v_cmp_eq_u32_e32 vcc, s21, v8
	v_cndmask_b32_e32 v7, v12, v7, vcc
	v_cmp_ne_u32_e32 vcc, 0, v7
	v_cndmask_b32_e64 v7, v13, v11, s[0:1]
	v_cndmask_b32_e32 v8, v9, v10, vcc
	v_cndmask_b32_e32 v7, v4, v7, vcc
.LBB0_4:                                ;   in Loop: Header=BB0_2 Depth=1
	s_andn2_saveexec_b64 s[0:1], s[22:23]
	s_cbranch_execz .LBB0_6
; %bb.5:                                ;   in Loop: Header=BB0_2 Depth=1
	v_cvt_f32_u32_e32 v4, s20
	s_sub_i32 s22, 0, s20
	v_rcp_iflag_f32_e32 v4, v4
	v_mul_f32_e32 v4, 0x4f7ffffe, v4
	v_cvt_u32_f32_e32 v4, v4
	v_mul_lo_u32 v7, s22, v4
	v_mul_hi_u32 v7, v4, v7
	v_add_u32_e32 v4, v4, v7
	v_mul_hi_u32 v4, v5, v4
	v_mul_lo_u32 v7, v4, s20
	v_add_u32_e32 v8, 1, v4
	v_sub_u32_e32 v7, v5, v7
	v_subrev_u32_e32 v9, s20, v7
	v_cmp_le_u32_e32 vcc, s20, v7
	v_cndmask_b32_e32 v7, v7, v9, vcc
	v_cndmask_b32_e32 v4, v4, v8, vcc
	v_add_u32_e32 v8, 1, v4
	v_cmp_le_u32_e32 vcc, s20, v7
	v_cndmask_b32_e32 v7, v4, v8, vcc
	v_mov_b32_e32 v8, v3
.LBB0_6:                                ;   in Loop: Header=BB0_2 Depth=1
	s_or_b64 exec, exec, s[0:1]
	v_mul_lo_u32 v4, v8, s20
	v_mul_lo_u32 v11, v7, s21
	v_mad_u64_u32 v[9:10], s[0:1], v7, s20, 0
	s_load_dwordx2 s[0:1], s[6:7], 0x0
	s_add_u32 s16, s16, 1
	v_add3_u32 v4, v10, v11, v4
	v_sub_co_u32_e32 v5, vcc, v5, v9
	v_subb_co_u32_e32 v4, vcc, v6, v4, vcc
	s_waitcnt lgkmcnt(0)
	v_mul_lo_u32 v4, s0, v4
	v_mul_lo_u32 v6, s1, v5
	v_mad_u64_u32 v[1:2], s[0:1], s0, v5, v[1:2]
	s_addc_u32 s17, s17, 0
	s_add_u32 s6, s6, 8
	v_add3_u32 v2, v6, v2, v4
	v_mov_b32_e32 v4, s10
	v_mov_b32_e32 v5, s11
	s_addc_u32 s7, s7, 0
	v_cmp_ge_u64_e32 vcc, s[16:17], v[4:5]
	s_add_u32 s18, s18, 8
	s_addc_u32 s19, s19, 0
	s_cbranch_vccnz .LBB0_8
; %bb.7:                                ;   in Loop: Header=BB0_2 Depth=1
	v_mov_b32_e32 v5, v7
	v_mov_b32_e32 v6, v8
	s_branch .LBB0_2
.LBB0_8:
	s_lshl_b64 s[0:1], s[10:11], 3
	s_add_u32 s0, s14, s0
	s_addc_u32 s1, s15, s1
	s_load_dwordx2 s[6:7], s[0:1], 0x0
	s_load_dwordx2 s[10:11], s[4:5], 0x20
	s_waitcnt lgkmcnt(0)
	v_mad_u64_u32 v[1:2], s[0:1], s6, v7, v[1:2]
	s_mov_b32 s0, 0x1745d175
	v_mul_lo_u32 v3, s6, v8
	v_mul_lo_u32 v4, s7, v7
	v_mul_hi_u32 v5, v0, s0
	v_cmp_gt_u64_e32 vcc, s[10:11], v[7:8]
	v_cmp_le_u64_e64 s[0:1], s[10:11], v[7:8]
	v_add3_u32 v2, v4, v2, v3
	v_mul_u32_u24_e32 v3, 11, v5
	v_sub_u32_e32 v96, v0, v3
	v_add_u32_e32 v41, 11, v96
	v_add_u32_e32 v42, 22, v96
	;; [unrolled: 1-line block ×3, first 2 shown]
	s_and_saveexec_b64 s[4:5], s[0:1]
	s_xor_b64 s[0:1], exec, s[4:5]
; %bb.9:
	v_add_u32_e32 v41, 11, v96
	v_add_u32_e32 v42, 22, v96
	;; [unrolled: 1-line block ×3, first 2 shown]
; %bb.10:
	s_or_saveexec_b64 s[4:5], s[0:1]
	v_lshlrev_b64 v[44:45], 4, v[1:2]
                                        ; implicit-def: $vgpr18_vgpr19
                                        ; implicit-def: $vgpr2_vgpr3
                                        ; implicit-def: $vgpr22_vgpr23
                                        ; implicit-def: $vgpr6_vgpr7
                                        ; implicit-def: $vgpr26_vgpr27
                                        ; implicit-def: $vgpr10_vgpr11
                                        ; implicit-def: $vgpr34_vgpr35
                                        ; implicit-def: $vgpr14_vgpr15
                                        ; implicit-def: $vgpr38_vgpr39
                                        ; implicit-def: $vgpr30_vgpr31
	s_xor_b64 exec, exec, s[4:5]
	s_cbranch_execz .LBB0_12
; %bb.11:
	v_mad_u64_u32 v[0:1], s[0:1], s2, v96, 0
	v_add_u32_e32 v5, 55, v96
	v_mov_b32_e32 v4, s13
	v_mad_u64_u32 v[1:2], s[0:1], s3, v96, v[1:2]
	v_mad_u64_u32 v[2:3], s[0:1], s2, v5, 0
	v_add_co_u32_e64 v8, s[0:1], s12, v44
	v_addc_co_u32_e64 v9, s[0:1], v4, v45, s[0:1]
	v_mad_u64_u32 v[3:4], s[0:1], s3, v5, v[3:4]
	v_mad_u64_u32 v[4:5], s[0:1], s2, v41, 0
	v_lshlrev_b64 v[0:1], 4, v[0:1]
	v_add_co_u32_e64 v46, s[0:1], v8, v0
	v_addc_co_u32_e64 v47, s[0:1], v9, v1, s[0:1]
	v_lshlrev_b64 v[0:1], 4, v[2:3]
	v_mov_b32_e32 v2, v5
	v_mad_u64_u32 v[2:3], s[0:1], s3, v41, v[2:3]
	v_add_u32_e32 v3, 0x42, v96
	v_mad_u64_u32 v[6:7], s[0:1], s2, v3, 0
	v_add_co_u32_e64 v48, s[0:1], v8, v0
	v_mov_b32_e32 v5, v2
	v_mov_b32_e32 v2, v7
	v_addc_co_u32_e64 v49, s[0:1], v9, v1, s[0:1]
	v_mad_u64_u32 v[2:3], s[0:1], s3, v3, v[2:3]
	v_lshlrev_b64 v[0:1], 4, v[4:5]
	v_mad_u64_u32 v[3:4], s[0:1], s2, v42, 0
	v_add_co_u32_e64 v50, s[0:1], v8, v0
	v_mov_b32_e32 v7, v2
	v_mov_b32_e32 v2, v4
	v_addc_co_u32_e64 v51, s[0:1], v9, v1, s[0:1]
	v_lshlrev_b64 v[0:1], 4, v[6:7]
	v_mad_u64_u32 v[4:5], s[0:1], s3, v42, v[2:3]
	v_add_u32_e32 v7, 0x4d, v96
	v_mad_u64_u32 v[5:6], s[0:1], s2, v7, 0
	v_add_co_u32_e64 v52, s[0:1], v8, v0
	v_mov_b32_e32 v2, v6
	v_addc_co_u32_e64 v53, s[0:1], v9, v1, s[0:1]
	v_lshlrev_b64 v[0:1], 4, v[3:4]
	v_mad_u64_u32 v[2:3], s[0:1], s3, v7, v[2:3]
	v_add_u32_e32 v7, 33, v96
	v_mad_u64_u32 v[3:4], s[0:1], s2, v7, 0
	v_add_co_u32_e64 v54, s[0:1], v8, v0
	v_mov_b32_e32 v6, v2
	v_mov_b32_e32 v2, v4
	v_addc_co_u32_e64 v55, s[0:1], v9, v1, s[0:1]
	v_lshlrev_b64 v[0:1], 4, v[5:6]
	v_mad_u64_u32 v[4:5], s[0:1], s3, v7, v[2:3]
	v_add_u32_e32 v7, 0x58, v96
	v_mad_u64_u32 v[5:6], s[0:1], s2, v7, 0
	v_add_co_u32_e64 v56, s[0:1], v8, v0
	v_mov_b32_e32 v2, v6
	v_addc_co_u32_e64 v57, s[0:1], v9, v1, s[0:1]
	v_lshlrev_b64 v[0:1], 4, v[3:4]
	v_mad_u64_u32 v[2:3], s[0:1], s3, v7, v[2:3]
	v_mad_u64_u32 v[3:4], s[0:1], s2, v43, 0
	v_add_co_u32_e64 v58, s[0:1], v8, v0
	v_mov_b32_e32 v6, v2
	v_mov_b32_e32 v2, v4
	v_addc_co_u32_e64 v59, s[0:1], v9, v1, s[0:1]
	v_lshlrev_b64 v[0:1], 4, v[5:6]
	v_mad_u64_u32 v[4:5], s[0:1], s3, v43, v[2:3]
	v_add_u32_e32 v7, 0x63, v96
	v_mad_u64_u32 v[5:6], s[0:1], s2, v7, 0
	v_add_co_u32_e64 v60, s[0:1], v8, v0
	v_mov_b32_e32 v2, v6
	v_addc_co_u32_e64 v61, s[0:1], v9, v1, s[0:1]
	v_lshlrev_b64 v[0:1], 4, v[3:4]
	v_mad_u64_u32 v[2:3], s[0:1], s3, v7, v[2:3]
	v_add_co_u32_e64 v62, s[0:1], v8, v0
	v_mov_b32_e32 v6, v2
	v_addc_co_u32_e64 v63, s[0:1], v9, v1, s[0:1]
	v_lshlrev_b64 v[0:1], 4, v[5:6]
	v_add_co_u32_e64 v64, s[0:1], v8, v0
	v_addc_co_u32_e64 v65, s[0:1], v9, v1, s[0:1]
	global_load_dwordx4 v[28:31], v[46:47], off
	global_load_dwordx4 v[36:39], v[48:49], off
	;; [unrolled: 1-line block ×10, first 2 shown]
.LBB0_12:
	s_or_b64 exec, exec, s[4:5]
	s_waitcnt vmcnt(8)
	v_add_f64 v[36:37], v[28:29], -v[36:37]
	v_add_f64 v[38:39], v[30:31], -v[38:39]
	s_mov_b32 s0, 0x38e38e39
	s_waitcnt vmcnt(6)
	v_add_f64 v[32:33], v[12:13], -v[32:33]
	v_add_f64 v[34:35], v[14:15], -v[34:35]
	v_mul_hi_u32 v46, v40, s0
	s_waitcnt vmcnt(4)
	v_add_f64 v[24:25], v[8:9], -v[24:25]
	v_add_f64 v[26:27], v[10:11], -v[26:27]
	s_waitcnt vmcnt(0)
	v_add_f64 v[16:17], v[0:1], -v[16:17]
	v_add_f64 v[18:19], v[2:3], -v[18:19]
	;; [unrolled: 1-line block ×4, first 2 shown]
	v_lshrrev_b32_e32 v46, 2, v46
	v_mul_lo_u32 v46, v46, 18
	v_fma_f64 v[28:29], v[28:29], 2.0, -v[36:37]
	v_fma_f64 v[30:31], v[30:31], 2.0, -v[38:39]
	;; [unrolled: 1-line block ×6, first 2 shown]
	v_sub_u32_e32 v40, v40, v46
	v_fma_f64 v[0:1], v[0:1], 2.0, -v[16:17]
	v_fma_f64 v[2:3], v[2:3], 2.0, -v[18:19]
	v_mul_u32_u24_e32 v40, 0x6e, v40
	v_fma_f64 v[4:5], v[4:5], 2.0, -v[20:21]
	v_fma_f64 v[6:7], v[6:7], 2.0, -v[22:23]
	v_lshlrev_b32_e32 v47, 4, v40
	v_add_u32_e32 v40, 0, v47
	v_lshl_add_u32 v46, v96, 5, v40
	ds_write_b128 v46, v[28:31]
	ds_write_b128 v46, v[36:39] offset:16
	v_lshl_add_u32 v28, v41, 5, v40
	ds_write_b128 v28, v[12:15]
	ds_write_b128 v28, v[32:35] offset:16
	;; [unrolled: 3-line block ×3, first 2 shown]
	ds_write_b128 v46, v[4:7] offset:1056
	ds_write_b128 v46, v[20:23] offset:1072
	v_lshl_add_u32 v33, v43, 5, v40
	v_and_b32_e32 v46, 1, v96
	ds_write_b128 v33, v[0:3]
	ds_write_b128 v33, v[16:19] offset:16
	v_lshlrev_b32_e32 v16, 6, v46
	s_waitcnt lgkmcnt(0)
	s_barrier
	global_load_dwordx4 v[0:3], v16, s[8:9]
	global_load_dwordx4 v[4:7], v16, s[8:9] offset:16
	global_load_dwordx4 v[8:11], v16, s[8:9] offset:32
	;; [unrolled: 1-line block ×3, first 2 shown]
	v_and_b32_e32 v95, 1, v41
	v_lshlrev_b32_e32 v34, 6, v95
	global_load_dwordx4 v[16:19], v34, s[8:9]
	global_load_dwordx4 v[20:23], v34, s[8:9] offset:16
	global_load_dwordx4 v[24:27], v34, s[8:9] offset:32
	;; [unrolled: 1-line block ×3, first 2 shown]
	v_lshlrev_b32_e32 v35, 4, v42
	v_lshlrev_b32_e32 v34, 4, v96
	v_lshlrev_b32_e32 v36, 4, v43
	v_sub_u32_e32 v32, v32, v35
	v_add3_u32 v47, 0, v34, v47
	v_lshl_add_u32 v42, v41, 4, v40
	v_add_u32_e32 v48, v40, v34
	v_sub_u32_e32 v43, v33, v36
	ds_read_b128 v[32:35], v32
	ds_read_b128 v[36:39], v47 offset:1584
	ds_read_b128 v[49:52], v43
	ds_read_b128 v[53:56], v42
	ds_read_b128 v[57:60], v47 offset:1056
	ds_read_b128 v[61:64], v47 offset:880
	;; [unrolled: 1-line block ×5, first 2 shown]
	ds_read_b128 v[77:80], v48
	s_mov_b32 s10, 0x134454ff
	s_mov_b32 s11, 0xbfee6f0e
	s_mov_b32 s7, 0x3fee6f0e
	s_mov_b32 s6, s10
	s_mov_b32 s0, 0x4755a5e
	s_mov_b32 s1, 0xbfe2cf23
	s_mov_b32 s5, 0x3fe2cf23
	s_mov_b32 s4, s0
	s_mov_b32 s14, 0x372fe950
	s_mov_b32 s15, 0x3fd3c6ef
	v_lshrrev_b32_e32 v41, 1, v41
	v_mul_lo_u32 v41, v41, 10
	s_waitcnt vmcnt(0) lgkmcnt(0)
	s_barrier
	v_or_b32_e32 v41, v41, v95
	v_mul_f64 v[42:43], v[34:35], v[2:3]
	v_mul_f64 v[2:3], v[32:33], v[2:3]
	;; [unrolled: 1-line block ×16, first 2 shown]
	v_fma_f64 v[32:33], v[32:33], v[0:1], v[42:43]
	v_fma_f64 v[34:35], v[34:35], v[0:1], -v[2:3]
	v_fma_f64 v[0:1], v[49:50], v[4:5], v[81:82]
	v_fma_f64 v[4:5], v[51:52], v[4:5], -v[6:7]
	;; [unrolled: 2-line block ×6, first 2 shown]
	v_fma_f64 v[22:23], v[69:70], v[24:25], v[91:92]
	v_add_f64 v[12:13], v[0:1], v[2:3]
	v_fma_f64 v[24:25], v[71:72], v[24:25], -v[26:27]
	v_fma_f64 v[26:27], v[36:37], v[28:29], v[93:94]
	v_fma_f64 v[28:29], v[38:39], v[28:29], -v[30:31]
	v_add_f64 v[14:15], v[32:33], v[8:9]
	v_add_f64 v[16:17], v[4:5], v[6:7]
	v_add_f64 v[36:37], v[32:33], -v[0:1]
	v_add_f64 v[38:39], v[8:9], -v[2:3]
	v_add_f64 v[57:58], v[77:78], v[32:33]
	v_add_f64 v[59:60], v[79:80], v[34:35]
	;; [unrolled: 1-line block ×3, first 2 shown]
	v_add_f64 v[30:31], v[34:35], -v[10:11]
	v_fma_f64 v[12:13], v[12:13], -0.5, v[77:78]
	v_add_f64 v[61:62], v[4:5], -v[6:7]
	v_fma_f64 v[14:15], v[14:15], -0.5, v[77:78]
	v_fma_f64 v[16:17], v[16:17], -0.5, v[79:80]
	v_add_f64 v[36:37], v[36:37], v[38:39]
	v_add_f64 v[38:39], v[57:58], v[0:1]
	;; [unrolled: 1-line block ×3, first 2 shown]
	v_add_f64 v[65:66], v[32:33], -v[8:9]
	v_fma_f64 v[63:64], v[30:31], s[10:11], v[12:13]
	v_fma_f64 v[18:19], v[18:19], -0.5, v[79:80]
	v_fma_f64 v[12:13], v[30:31], s[6:7], v[12:13]
	v_fma_f64 v[59:60], v[61:62], s[6:7], v[14:15]
	;; [unrolled: 1-line block ×3, first 2 shown]
	v_add_f64 v[32:33], v[0:1], -v[32:33]
	v_add_f64 v[67:68], v[2:3], -v[8:9]
	v_add_f64 v[38:39], v[38:39], v[2:3]
	v_add_f64 v[57:58], v[57:58], v[6:7]
	v_add_f64 v[69:70], v[0:1], -v[2:3]
	v_add_f64 v[71:72], v[34:35], -v[4:5]
	;; [unrolled: 1-line block ×3, first 2 shown]
	v_fma_f64 v[75:76], v[65:66], s[6:7], v[16:17]
	v_fma_f64 v[63:64], v[61:62], s[0:1], v[63:64]
	;; [unrolled: 1-line block ×3, first 2 shown]
	v_add_f64 v[32:33], v[32:33], v[67:68]
	v_fma_f64 v[59:60], v[30:31], s[0:1], v[59:60]
	v_fma_f64 v[30:31], v[30:31], s[4:5], v[14:15]
	v_add_f64 v[0:1], v[38:39], v[8:9]
	v_add_f64 v[2:3], v[57:58], v[10:11]
	;; [unrolled: 1-line block ×3, first 2 shown]
	v_fma_f64 v[8:9], v[69:70], s[4:5], v[75:76]
	v_fma_f64 v[16:17], v[65:66], s[10:11], v[16:17]
	;; [unrolled: 1-line block ×3, first 2 shown]
	v_add_f64 v[57:58], v[51:52], v[22:23]
	v_add_f64 v[34:35], v[4:5], -v[34:35]
	v_add_f64 v[10:11], v[6:7], -v[10:11]
	v_fma_f64 v[18:19], v[69:70], s[6:7], v[18:19]
	v_fma_f64 v[4:5], v[36:37], s[14:15], v[63:64]
	;; [unrolled: 1-line block ×5, first 2 shown]
	v_fma_f64 v[57:58], v[57:58], -0.5, v[53:54]
	v_add_f64 v[61:62], v[49:50], -v[28:29]
	v_add_f64 v[34:35], v[34:35], v[10:11]
	v_fma_f64 v[12:13], v[36:37], s[14:15], v[12:13]
	v_fma_f64 v[18:19], v[65:66], s[0:1], v[18:19]
	;; [unrolled: 1-line block ×3, first 2 shown]
	v_add_f64 v[36:37], v[42:43], -v[51:52]
	v_add_f64 v[59:60], v[26:27], -v[22:23]
	v_add_f64 v[63:64], v[42:43], v[26:27]
	v_fma_f64 v[65:66], v[61:62], s[10:11], v[57:58]
	v_add_f64 v[67:68], v[20:21], -v[24:25]
	v_fma_f64 v[14:15], v[14:15], s[14:15], v[16:17]
	v_fma_f64 v[10:11], v[34:35], s[14:15], v[38:39]
	;; [unrolled: 1-line block ×4, first 2 shown]
	v_add_f64 v[30:31], v[36:37], v[59:60]
	v_fma_f64 v[32:33], v[61:62], s[6:7], v[57:58]
	v_fma_f64 v[34:35], v[63:64], -0.5, v[53:54]
	v_add_f64 v[38:39], v[20:21], v[24:25]
	v_add_f64 v[57:58], v[49:50], v[28:29]
	;; [unrolled: 1-line block ×4, first 2 shown]
	v_fma_f64 v[36:37], v[67:68], s[0:1], v[65:66]
	v_add_f64 v[63:64], v[51:52], -v[42:43]
	v_add_f64 v[65:66], v[22:23], -v[26:27]
	v_fma_f64 v[69:70], v[67:68], s[6:7], v[34:35]
	v_fma_f64 v[34:35], v[67:68], s[10:11], v[34:35]
	v_fma_f64 v[38:39], v[38:39], -0.5, v[55:56]
	v_add_f64 v[53:54], v[53:54], v[51:52]
	v_add_f64 v[59:60], v[59:60], v[20:21]
	v_fma_f64 v[55:56], v[57:58], -0.5, v[55:56]
	v_add_f64 v[42:43], v[42:43], -v[26:27]
	v_add_f64 v[51:52], v[51:52], -v[22:23]
	v_fma_f64 v[32:33], v[67:68], s[4:5], v[32:33]
	v_add_f64 v[57:58], v[63:64], v[65:66]
	v_fma_f64 v[63:64], v[61:62], s[0:1], v[69:70]
	v_fma_f64 v[34:35], v[61:62], s[4:5], v[34:35]
	v_add_f64 v[22:23], v[53:54], v[22:23]
	v_add_f64 v[53:54], v[59:60], v[24:25]
	v_add_f64 v[59:60], v[49:50], -v[20:21]
	v_add_f64 v[61:62], v[28:29], -v[24:25]
	;; [unrolled: 1-line block ×3, first 2 shown]
	v_fma_f64 v[65:66], v[42:43], s[6:7], v[38:39]
	v_fma_f64 v[38:39], v[42:43], s[10:11], v[38:39]
	;; [unrolled: 1-line block ×3, first 2 shown]
	v_add_f64 v[24:25], v[24:25], -v[28:29]
	v_fma_f64 v[55:56], v[51:52], s[6:7], v[55:56]
	v_add_f64 v[20:21], v[22:23], v[26:27]
	v_add_f64 v[22:23], v[53:54], v[28:29]
	;; [unrolled: 1-line block ×3, first 2 shown]
	v_fma_f64 v[26:27], v[51:52], s[4:5], v[65:66]
	v_fma_f64 v[38:39], v[51:52], s[0:1], v[38:39]
	;; [unrolled: 1-line block ×3, first 2 shown]
	v_add_f64 v[49:50], v[49:50], v[24:25]
	v_fma_f64 v[42:43], v[42:43], s[0:1], v[55:56]
	v_fma_f64 v[24:25], v[30:31], s[14:15], v[36:37]
	;; [unrolled: 1-line block ×9, first 2 shown]
	v_lshrrev_b32_e32 v42, 1, v96
	v_mul_u32_u24_e32 v42, 10, v42
	v_or_b32_e32 v42, v42, v46
	v_lshl_add_u32 v42, v42, 4, v40
	v_lshl_add_u32 v40, v41, 4, v40
	v_cmp_gt_u32_e64 s[0:1], 10, v96
	ds_write_b128 v42, v[0:3]
	ds_write_b128 v42, v[4:7] offset:32
	ds_write_b128 v42, v[8:11] offset:64
	;; [unrolled: 1-line block ×4, first 2 shown]
	ds_write_b128 v40, v[20:23]
	ds_write_b128 v40, v[24:27] offset:32
	ds_write_b128 v40, v[28:31] offset:64
	;; [unrolled: 1-line block ×4, first 2 shown]
	s_waitcnt lgkmcnt(0)
	s_barrier
	s_waitcnt lgkmcnt(0)
                                        ; implicit-def: $vgpr42_vgpr43
	s_and_saveexec_b64 s[4:5], s[0:1]
	s_cbranch_execnz .LBB0_15
; %bb.13:
	s_or_b64 exec, exec, s[4:5]
	s_and_b64 s[0:1], vcc, s[0:1]
	s_and_saveexec_b64 s[4:5], s[0:1]
	s_cbranch_execnz .LBB0_16
.LBB0_14:
	s_endpgm
.LBB0_15:
	ds_read_b128 v[0:3], v48
	ds_read_b128 v[4:7], v47 offset:160
	ds_read_b128 v[8:11], v47 offset:320
	;; [unrolled: 1-line block ×10, first 2 shown]
	s_or_b64 exec, exec, s[4:5]
	s_and_b64 s[0:1], vcc, s[0:1]
	s_and_saveexec_b64 s[4:5], s[0:1]
	s_cbranch_execz .LBB0_14
.LBB0_16:
	v_mul_u32_u24_e32 v46, 10, v96
	v_lshlrev_b32_e32 v50, 4, v46
	global_load_dwordx4 v[46:49], v50, s[8:9] offset:192
	global_load_dwordx4 v[54:57], v50, s[8:9] offset:208
	;; [unrolled: 1-line block ×10, first 2 shown]
	s_mov_b32 s4, 0xfd768dbf
	s_mov_b32 s5, 0xbfd207e7
	;; [unrolled: 1-line block ×26, first 2 shown]
	s_waitcnt vmcnt(9) lgkmcnt(5)
	v_mul_f64 v[50:51], v[22:23], v[48:49]
	v_mul_f64 v[48:49], v[20:21], v[48:49]
	s_waitcnt vmcnt(8) lgkmcnt(4)
	v_mul_f64 v[74:75], v[26:27], v[56:57]
	s_waitcnt vmcnt(6)
	v_mul_f64 v[86:87], v[10:11], v[64:65]
	s_waitcnt vmcnt(5)
	v_mul_f64 v[88:89], v[6:7], v[68:69]
	s_waitcnt vmcnt(4) lgkmcnt(0)
	v_mul_f64 v[94:95], v[42:43], v[72:73]
	v_mul_f64 v[68:69], v[4:5], v[68:69]
	;; [unrolled: 1-line block ×3, first 2 shown]
	s_waitcnt vmcnt(3)
	v_mul_f64 v[101:102], v[38:39], v[78:79]
	s_waitcnt vmcnt(1)
	v_mul_f64 v[105:106], v[18:19], v[92:93]
	v_fma_f64 v[50:51], v[20:21], v[46:47], v[50:51]
	v_fma_f64 v[52:53], v[22:23], v[46:47], -v[48:49]
	v_fma_f64 v[46:47], v[24:25], v[54:55], v[74:75]
	v_fma_f64 v[74:75], v[8:9], v[62:63], v[86:87]
	;; [unrolled: 1-line block ×4, first 2 shown]
	v_mul_f64 v[56:57], v[24:25], v[56:57]
	v_mul_f64 v[80:81], v[14:15], v[60:61]
	;; [unrolled: 1-line block ×4, first 2 shown]
	s_waitcnt vmcnt(0)
	v_mul_f64 v[107:108], v[34:35], v[99:100]
	v_mul_f64 v[92:93], v[16:17], v[92:93]
	v_fma_f64 v[88:89], v[6:7], v[66:67], -v[68:69]
	v_fma_f64 v[22:23], v[42:43], v[70:71], -v[72:73]
	v_fma_f64 v[24:25], v[36:37], v[76:77], v[101:102]
	v_fma_f64 v[68:69], v[16:17], v[90:91], v[105:106]
	v_add_f64 v[105:106], v[86:87], -v[20:21]
	v_mul_f64 v[103:104], v[30:31], v[84:85]
	v_mul_f64 v[84:85], v[28:29], v[84:85]
	v_mul_f64 v[99:100], v[32:33], v[99:100]
	v_fma_f64 v[48:49], v[26:27], v[54:55], -v[56:57]
	v_fma_f64 v[54:55], v[12:13], v[58:59], v[80:81]
	v_fma_f64 v[80:81], v[10:11], v[62:63], -v[64:65]
	v_fma_f64 v[26:27], v[38:39], v[76:77], -v[78:79]
	v_fma_f64 v[72:73], v[18:19], v[90:91], -v[92:93]
	v_fma_f64 v[16:17], v[32:33], v[97:98], v[107:108]
	v_add_f64 v[94:95], v[74:75], -v[24:25]
	v_add_f64 v[76:77], v[88:89], v[22:23]
	v_add_f64 v[90:91], v[88:89], -v[22:23]
	v_mul_f64 v[4:5], v[105:106], s[4:5]
	v_mul_f64 v[60:61], v[12:13], v[60:61]
	v_fma_f64 v[28:29], v[28:29], v[82:83], v[103:104]
	v_fma_f64 v[30:31], v[30:31], v[82:83], -v[84:85]
	v_fma_f64 v[18:19], v[34:35], v[97:98], -v[99:100]
	v_add_f64 v[66:67], v[80:81], v[26:27]
	v_add_f64 v[82:83], v[80:81], -v[26:27]
	v_add_f64 v[78:79], v[86:87], v[20:21]
	v_add_f64 v[92:93], v[68:69], -v[16:17]
	v_mul_f64 v[6:7], v[94:95], s[22:23]
	v_mul_f64 v[8:9], v[90:91], s[4:5]
	v_fma_f64 v[117:118], v[76:77], s[0:1], v[4:5]
	v_fma_f64 v[60:61], v[14:15], v[58:59], -v[60:61]
	v_add_f64 v[42:43], v[74:75], v[24:25]
	v_add_f64 v[64:65], v[72:73], v[18:19]
	v_add_f64 v[70:71], v[72:73], -v[18:19]
	v_add_f64 v[84:85], v[54:55], -v[28:29]
	v_mul_f64 v[10:11], v[82:83], s[22:23]
	v_mul_f64 v[12:13], v[92:93], s[8:9]
	v_mul_f64 v[101:102], v[105:106], s[8:9]
	v_fma_f64 v[119:120], v[78:79], s[0:1], -v[8:9]
	v_fma_f64 v[4:5], v[76:77], s[0:1], -v[4:5]
	v_fma_f64 v[121:122], v[66:67], s[16:17], v[6:7]
	v_fma_f64 v[8:9], v[78:79], s[0:1], v[8:9]
	v_add_f64 v[117:118], v[2:3], v[117:118]
	v_add_f64 v[38:39], v[68:69], v[16:17]
	;; [unrolled: 1-line block ×3, first 2 shown]
	v_add_f64 v[58:59], v[60:61], -v[30:31]
	v_mul_f64 v[14:15], v[70:71], s[8:9]
	v_mul_f64 v[97:98], v[84:85], s[20:21]
	;; [unrolled: 1-line block ×4, first 2 shown]
	v_fma_f64 v[123:124], v[42:43], s[16:17], -v[10:11]
	v_fma_f64 v[125:126], v[76:77], s[6:7], v[101:102]
	v_fma_f64 v[6:7], v[66:67], s[16:17], -v[6:7]
	v_fma_f64 v[10:11], v[42:43], s[16:17], v[10:11]
	v_add_f64 v[119:120], v[0:1], v[119:120]
	v_fma_f64 v[129:130], v[64:65], s[6:7], v[12:13]
	v_add_f64 v[4:5], v[2:3], v[4:5]
	v_add_f64 v[8:9], v[0:1], v[8:9]
	;; [unrolled: 1-line block ×4, first 2 shown]
	v_add_f64 v[62:63], v[50:51], -v[46:47]
	v_add_f64 v[40:41], v[52:53], -v[48:49]
	v_mul_f64 v[99:100], v[58:59], s[20:21]
	v_mul_f64 v[111:112], v[92:93], s[24:25]
	;; [unrolled: 1-line block ×3, first 2 shown]
	v_fma_f64 v[127:128], v[66:67], s[14:15], v[103:104]
	v_fma_f64 v[131:132], v[38:39], s[6:7], -v[14:15]
	v_fma_f64 v[12:13], v[64:65], s[6:7], -v[12:13]
	v_fma_f64 v[14:15], v[38:39], s[6:7], v[14:15]
	v_add_f64 v[119:120], v[123:124], v[119:120]
	v_fma_f64 v[121:122], v[56:57], s[10:11], v[97:98]
	v_add_f64 v[125:126], v[2:3], v[125:126]
	v_add_f64 v[4:5], v[6:7], v[4:5]
	;; [unrolled: 1-line block ×4, first 2 shown]
	v_fma_f64 v[117:118], v[78:79], s[6:7], -v[113:114]
	v_add_f64 v[32:33], v[52:53], v[48:49]
	v_add_f64 v[34:35], v[50:51], v[46:47]
	v_mul_f64 v[107:108], v[62:63], s[18:19]
	v_mul_f64 v[109:110], v[40:41], s[18:19]
	v_fma_f64 v[123:124], v[36:37], s[10:11], -v[99:100]
	v_add_f64 v[10:11], v[131:132], v[119:120]
	v_add_f64 v[125:126], v[127:128], v[125:126]
	;; [unrolled: 1-line block ×5, first 2 shown]
	v_fma_f64 v[12:13], v[64:65], s[16:17], v[111:112]
	v_add_f64 v[14:15], v[0:1], v[117:118]
	v_fma_f64 v[117:118], v[42:43], s[14:15], -v[115:116]
	v_mul_f64 v[121:122], v[70:71], s[24:25]
	v_fma_f64 v[97:98], v[56:57], s[10:11], -v[97:98]
	v_fma_f64 v[99:100], v[36:37], s[10:11], v[99:100]
	v_fma_f64 v[119:120], v[32:33], s[14:15], v[107:108]
	v_add_f64 v[10:11], v[123:124], v[10:11]
	v_fma_f64 v[123:124], v[34:35], s[14:15], -v[109:110]
	v_add_f64 v[12:13], v[12:13], v[125:126]
	v_add_f64 v[14:15], v[117:118], v[14:15]
	v_fma_f64 v[117:118], v[38:39], s[16:17], -v[121:122]
	v_mul_f64 v[125:126], v[58:59], s[4:5]
	v_mul_f64 v[127:128], v[84:85], s[4:5]
	v_add_f64 v[97:98], v[97:98], v[4:5]
	v_fma_f64 v[107:108], v[32:33], s[14:15], -v[107:108]
	v_add_f64 v[99:100], v[99:100], v[6:7]
	v_add_f64 v[6:7], v[119:120], v[8:9]
	v_fma_f64 v[8:9], v[76:77], s[6:7], -v[101:102]
	v_add_f64 v[4:5], v[123:124], v[10:11]
	v_add_f64 v[10:11], v[117:118], v[14:15]
	v_fma_f64 v[101:102], v[36:37], s[0:1], -v[125:126]
	v_fma_f64 v[109:110], v[34:35], s[14:15], v[109:110]
	v_fma_f64 v[129:130], v[56:57], s[0:1], v[127:128]
	v_mul_f64 v[131:132], v[62:63], s[20:21]
	v_fma_f64 v[103:104], v[66:67], s[14:15], -v[103:104]
	v_fma_f64 v[113:114], v[78:79], s[6:7], v[113:114]
	v_add_f64 v[8:9], v[2:3], v[8:9]
	v_add_f64 v[14:15], v[107:108], v[97:98]
	;; [unrolled: 1-line block ×3, first 2 shown]
	v_mul_f64 v[101:102], v[105:106], s[18:19]
	v_add_f64 v[117:118], v[129:130], v[12:13]
	v_fma_f64 v[119:120], v[32:33], s[10:11], v[131:132]
	v_add_f64 v[12:13], v[109:110], v[99:100]
	v_fma_f64 v[99:100], v[42:43], s[14:15], v[115:116]
	v_add_f64 v[107:108], v[0:1], v[113:114]
	v_add_f64 v[8:9], v[103:104], v[8:9]
	v_fma_f64 v[103:104], v[64:65], s[16:17], -v[111:112]
	v_fma_f64 v[109:110], v[76:77], s[14:15], v[101:102]
	v_mul_f64 v[111:112], v[94:95], s[28:29]
	v_add_f64 v[10:11], v[119:120], v[117:118]
	v_fma_f64 v[115:116], v[38:39], s[16:17], v[121:122]
	v_mul_f64 v[119:120], v[92:93], s[20:21]
	v_add_f64 v[99:100], v[99:100], v[107:108]
	v_mul_f64 v[107:108], v[90:91], s[18:19]
	v_add_f64 v[8:9], v[103:104], v[8:9]
	v_fma_f64 v[103:104], v[56:57], s[0:1], -v[127:128]
	v_add_f64 v[109:110], v[2:3], v[109:110]
	v_fma_f64 v[117:118], v[66:67], s[0:1], v[111:112]
	v_fma_f64 v[131:132], v[32:33], s[10:11], -v[131:132]
	v_mul_f64 v[113:114], v[40:41], s[20:21]
	v_add_f64 v[99:100], v[115:116], v[99:100]
	v_fma_f64 v[115:116], v[36:37], s[0:1], v[125:126]
	v_mul_f64 v[125:126], v[84:85], s[24:25]
	v_add_f64 v[103:104], v[103:104], v[8:9]
	v_fma_f64 v[123:124], v[78:79], s[14:15], -v[107:108]
	v_add_f64 v[109:110], v[117:118], v[109:110]
	v_fma_f64 v[117:118], v[64:65], s[10:11], v[119:120]
	v_mul_f64 v[127:128], v[82:83], s[28:29]
	v_fma_f64 v[101:102], v[76:77], s[14:15], -v[101:102]
	v_add_f64 v[115:116], v[115:116], v[99:100]
	v_fma_f64 v[121:122], v[34:35], s[10:11], -v[113:114]
	v_add_f64 v[99:100], v[131:132], v[103:104]
	v_fma_f64 v[103:104], v[78:79], s[14:15], v[107:108]
	v_add_f64 v[123:124], v[0:1], v[123:124]
	v_add_f64 v[109:110], v[117:118], v[109:110]
	v_fma_f64 v[117:118], v[56:57], s[16:17], v[125:126]
	v_fma_f64 v[129:130], v[42:43], s[0:1], -v[127:128]
	v_mul_f64 v[133:134], v[70:71], s[20:21]
	v_fma_f64 v[113:114], v[34:35], s[10:11], v[113:114]
	v_fma_f64 v[111:112], v[66:67], s[0:1], -v[111:112]
	v_add_f64 v[101:102], v[2:3], v[101:102]
	v_add_f64 v[103:104], v[0:1], v[103:104]
	;; [unrolled: 1-line block ×4, first 2 shown]
	v_fma_f64 v[117:118], v[42:43], s[0:1], v[127:128]
	v_add_f64 v[121:122], v[129:130], v[123:124]
	v_fma_f64 v[123:124], v[38:39], s[10:11], -v[133:134]
	v_add_f64 v[97:98], v[113:114], v[115:116]
	v_mul_f64 v[107:108], v[58:59], s[24:25]
	v_mul_f64 v[113:114], v[62:63], s[8:9]
	v_add_f64 v[101:102], v[111:112], v[101:102]
	v_fma_f64 v[111:112], v[64:65], s[10:11], -v[119:120]
	v_add_f64 v[117:118], v[117:118], v[103:104]
	v_fma_f64 v[119:120], v[38:39], s[10:11], v[133:134]
	s_mov_b32 s21, 0xbfed1bb4
	v_add_f64 v[115:116], v[123:124], v[121:122]
	v_fma_f64 v[121:122], v[36:37], s[16:17], -v[107:108]
	v_fma_f64 v[123:124], v[32:33], s[6:7], v[113:114]
	v_mul_f64 v[127:128], v[40:41], s[8:9]
	v_mul_f64 v[129:130], v[105:106], s[20:21]
	v_add_f64 v[111:112], v[111:112], v[101:102]
	v_fma_f64 v[125:126], v[56:57], s[16:17], -v[125:126]
	v_add_f64 v[117:118], v[119:120], v[117:118]
	v_mul_f64 v[119:120], v[90:91], s[20:21]
	v_add_f64 v[115:116], v[121:122], v[115:116]
	v_add_f64 v[103:104], v[123:124], v[109:110]
	v_fma_f64 v[109:110], v[34:35], s[6:7], -v[127:128]
	v_fma_f64 v[121:122], v[76:77], s[10:11], v[129:130]
	v_mul_f64 v[123:124], v[94:95], s[8:9]
	v_fma_f64 v[107:108], v[36:37], s[16:17], v[107:108]
	v_add_f64 v[111:112], v[125:126], v[111:112]
	v_fma_f64 v[113:114], v[32:33], s[6:7], -v[113:114]
	v_fma_f64 v[125:126], v[78:79], s[10:11], -v[119:120]
	v_mul_f64 v[131:132], v[82:83], s[8:9]
	v_fma_f64 v[119:120], v[78:79], s[10:11], v[119:120]
	v_add_f64 v[101:102], v[109:110], v[115:116]
	v_add_f64 v[109:110], v[2:3], v[121:122]
	v_fma_f64 v[115:116], v[66:67], s[6:7], v[123:124]
	v_mul_f64 v[121:122], v[92:93], s[28:29]
	v_add_f64 v[117:118], v[107:108], v[117:118]
	v_fma_f64 v[127:128], v[34:35], s[6:7], v[127:128]
	v_add_f64 v[107:108], v[113:114], v[111:112]
	v_add_f64 v[113:114], v[0:1], v[125:126]
	v_fma_f64 v[125:126], v[42:43], s[6:7], -v[131:132]
	v_fma_f64 v[131:132], v[42:43], s[6:7], v[131:132]
	v_add_f64 v[119:120], v[0:1], v[119:120]
	v_add_f64 v[109:110], v[115:116], v[109:110]
	v_fma_f64 v[115:116], v[64:65], s[0:1], v[121:122]
	v_mul_f64 v[133:134], v[84:85], s[26:27]
	v_fma_f64 v[111:112], v[76:77], s[10:11], -v[129:130]
	v_add_f64 v[88:89], v[2:3], v[88:89]
	v_mul_f64 v[129:130], v[70:71], s[28:29]
	v_fma_f64 v[123:124], v[66:67], s[6:7], -v[123:124]
	v_add_f64 v[119:120], v[131:132], v[119:120]
	v_mul_f64 v[131:132], v[105:106], s[24:25]
	v_add_f64 v[105:106], v[127:128], v[117:118]
	v_add_f64 v[127:128], v[0:1], v[86:87]
	;; [unrolled: 1-line block ×3, first 2 shown]
	v_fma_f64 v[115:116], v[56:57], s[14:15], v[133:134]
	v_add_f64 v[111:112], v[2:3], v[111:112]
	v_add_f64 v[80:81], v[80:81], v[88:89]
	;; [unrolled: 1-line block ×3, first 2 shown]
	v_fma_f64 v[125:126], v[38:39], s[0:1], -v[129:130]
	v_mul_f64 v[135:136], v[58:59], s[26:27]
	v_add_f64 v[74:75], v[74:75], v[127:128]
	v_mul_f64 v[137:138], v[62:63], s[22:23]
	v_add_f64 v[109:110], v[115:116], v[109:110]
	v_add_f64 v[111:112], v[123:124], v[111:112]
	v_fma_f64 v[115:116], v[64:65], s[0:1], -v[121:122]
	v_fma_f64 v[121:122], v[38:39], s[0:1], v[129:130]
	v_add_f64 v[72:73], v[72:73], v[80:81]
	v_add_f64 v[113:114], v[125:126], v[113:114]
	;; [unrolled: 1-line block ×3, first 2 shown]
	v_fma_f64 v[125:126], v[32:33], s[16:17], v[137:138]
	v_fma_f64 v[133:134], v[56:57], s[14:15], -v[133:134]
	v_fma_f64 v[123:124], v[36:37], s[14:15], -v[135:136]
	v_add_f64 v[115:116], v[115:116], v[111:112]
	v_add_f64 v[119:120], v[121:122], v[119:120]
	v_fma_f64 v[121:122], v[36:37], s[14:15], v[135:136]
	v_add_f64 v[60:61], v[60:61], v[72:73]
	v_add_f64 v[54:55], v[54:55], v[68:69]
	v_mul_f64 v[129:130], v[40:41], s[22:23]
	v_add_f64 v[111:112], v[125:126], v[109:110]
	v_fma_f64 v[109:110], v[76:77], s[16:17], v[131:132]
	v_mul_f64 v[94:95], v[94:95], s[20:21]
	v_add_f64 v[115:116], v[133:134], v[115:116]
	v_add_f64 v[119:120], v[121:122], v[119:120]
	v_fma_f64 v[121:122], v[32:33], s[16:17], -v[137:138]
	v_mul_f64 v[90:91], v[90:91], s[24:25]
	v_fma_f64 v[76:77], v[76:77], s[16:17], -v[131:132]
	v_add_f64 v[52:53], v[52:53], v[60:61]
	v_add_f64 v[50:51], v[50:51], v[54:55]
	;; [unrolled: 1-line block ×3, first 2 shown]
	v_fma_f64 v[117:118], v[34:35], s[16:17], -v[129:130]
	v_fma_f64 v[123:124], v[34:35], s[16:17], v[129:130]
	v_add_f64 v[125:126], v[2:3], v[109:110]
	v_fma_f64 v[129:130], v[66:67], s[10:11], v[94:95]
	v_mul_f64 v[92:93], v[92:93], s[18:19]
	v_add_f64 v[88:89], v[121:122], v[115:116]
	v_fma_f64 v[115:116], v[78:79], s[16:17], -v[90:91]
	v_mul_f64 v[82:83], v[82:83], s[20:21]
	v_add_f64 v[2:3], v[2:3], v[76:77]
	v_fma_f64 v[66:67], v[66:67], s[10:11], -v[94:95]
	v_fma_f64 v[74:75], v[78:79], s[16:17], v[90:91]
	v_add_f64 v[48:49], v[48:49], v[52:53]
	v_add_f64 v[46:47], v[46:47], v[50:51]
	v_mul_f64 v[80:81], v[84:85], s[8:9]
	v_add_f64 v[78:79], v[0:1], v[115:116]
	v_fma_f64 v[90:91], v[42:43], s[10:11], -v[82:83]
	v_mul_f64 v[70:71], v[70:71], s[18:19]
	v_fma_f64 v[54:55], v[64:65], s[14:15], -v[92:93]
	v_add_f64 v[2:3], v[66:67], v[2:3]
	v_add_f64 v[0:1], v[0:1], v[74:75]
	v_fma_f64 v[42:43], v[42:43], s[10:11], v[82:83]
	v_add_f64 v[30:31], v[30:31], v[48:49]
	v_add_f64 v[28:29], v[28:29], v[46:47]
	;; [unrolled: 1-line block ×3, first 2 shown]
	v_fma_f64 v[60:61], v[38:39], s[14:15], -v[70:71]
	v_mul_f64 v[62:63], v[62:63], s[4:5]
	v_mul_f64 v[58:59], v[58:59], s[8:9]
	v_fma_f64 v[50:51], v[56:57], s[6:7], -v[80:81]
	v_add_f64 v[46:47], v[54:55], v[2:3]
	v_fma_f64 v[38:39], v[38:39], s[14:15], v[70:71]
	v_add_f64 v[0:1], v[42:43], v[0:1]
	v_mul_f64 v[40:41], v[40:41], s[4:5]
	v_add_f64 v[18:19], v[18:19], v[30:31]
	v_add_f64 v[16:17], v[16:17], v[28:29]
	v_fma_f64 v[72:73], v[56:57], s[6:7], v[80:81]
	v_add_f64 v[52:53], v[60:61], v[68:69]
	v_fma_f64 v[56:57], v[32:33], s[0:1], v[62:63]
	v_fma_f64 v[42:43], v[36:37], s[6:7], -v[58:59]
	v_fma_f64 v[28:29], v[32:33], s[0:1], -v[62:63]
	v_add_f64 v[32:33], v[50:51], v[46:47]
	v_fma_f64 v[36:37], v[36:37], s[6:7], v[58:59]
	v_add_f64 v[0:1], v[38:39], v[0:1]
	v_fma_f64 v[30:31], v[34:35], s[0:1], -v[40:41]
	v_fma_f64 v[34:35], v[34:35], s[0:1], v[40:41]
	v_mad_u64_u32 v[40:41], s[0:1], s2, v96, 0
	v_add_f64 v[26:27], v[26:27], v[18:19]
	v_add_f64 v[24:25], v[24:25], v[16:17]
	v_mov_b32_e32 v16, v41
	v_add_f64 v[38:39], v[42:43], v[52:53]
	v_add_f64 v[18:19], v[28:29], v[32:33]
	v_mad_u64_u32 v[28:29], s[0:1], s3, v96, v[16:17]
	v_add_f64 v[36:37], v[36:37], v[0:1]
	v_add_f64 v[22:23], v[22:23], v[26:27]
	v_mov_b32_e32 v41, v28
	v_add_u32_e32 v28, 10, v96
	v_add_f64 v[20:21], v[20:21], v[24:25]
	v_mad_u64_u32 v[26:27], s[0:1], s2, v28, 0
	v_add_f64 v[0:1], v[30:31], v[38:39]
	v_mov_b32_e32 v24, s13
	v_add_co_u32_e32 v30, vcc, s12, v44
	v_add_f64 v[16:17], v[34:35], v[36:37]
	v_addc_co_u32_e32 v31, vcc, v24, v45, vcc
	v_lshlrev_b64 v[24:25], 4, v[40:41]
	v_mad_u64_u32 v[27:28], s[0:1], s3, v28, v[27:28]
	v_add_co_u32_e32 v24, vcc, v30, v24
	v_addc_co_u32_e32 v25, vcc, v31, v25, vcc
	v_add_u32_e32 v32, 20, v96
	v_mad_u64_u32 v[28:29], s[0:1], s2, v32, 0
	global_store_dwordx4 v[24:25], v[20:23], off
	v_add_f64 v[86:87], v[123:124], v[119:120]
	v_lshlrev_b64 v[20:21], 4, v[26:27]
	v_mov_b32_e32 v22, v29
	v_add_co_u32_e32 v20, vcc, v30, v20
	v_addc_co_u32_e32 v21, vcc, v31, v21, vcc
	global_store_dwordx4 v[20:21], v[16:19], off
	v_add_u32_e32 v20, 30, v96
	v_mad_u64_u32 v[22:23], s[0:1], s3, v32, v[22:23]
	v_mad_u64_u32 v[18:19], s[0:1], s2, v20, 0
	v_mov_b32_e32 v29, v22
	v_add_u32_e32 v22, 40, v96
	v_mad_u64_u32 v[19:20], s[0:1], s3, v20, v[19:20]
	v_lshlrev_b64 v[16:17], 4, v[28:29]
	v_mad_u64_u32 v[20:21], s[0:1], s2, v22, 0
	v_add_co_u32_e32 v16, vcc, v30, v16
	v_addc_co_u32_e32 v17, vcc, v31, v17, vcc
	global_store_dwordx4 v[16:17], v[86:89], off
	v_lshlrev_b64 v[16:17], 4, v[18:19]
	v_mov_b32_e32 v18, v21
	v_mad_u64_u32 v[18:19], s[0:1], s3, v22, v[18:19]
	v_add_co_u32_e32 v16, vcc, v30, v16
	v_addc_co_u32_e32 v17, vcc, v31, v17, vcc
	v_mov_b32_e32 v21, v18
	global_store_dwordx4 v[16:17], v[105:108], off
	v_lshlrev_b64 v[16:17], 4, v[20:21]
	v_add_u32_e32 v20, 50, v96
	v_mad_u64_u32 v[18:19], s[0:1], s2, v20, 0
	v_add_co_u32_e32 v16, vcc, v30, v16
	v_mad_u64_u32 v[19:20], s[0:1], s3, v20, v[19:20]
	v_addc_co_u32_e32 v17, vcc, v31, v17, vcc
	v_add_u32_e32 v22, 60, v96
	v_mad_u64_u32 v[20:21], s[0:1], s2, v22, 0
	global_store_dwordx4 v[16:17], v[97:100], off
	v_lshlrev_b64 v[16:17], 4, v[18:19]
	v_mov_b32_e32 v18, v21
	v_add_co_u32_e32 v16, vcc, v30, v16
	v_addc_co_u32_e32 v17, vcc, v31, v17, vcc
	global_store_dwordx4 v[16:17], v[12:15], off
	v_add_u32_e32 v16, 0x46, v96
	v_mad_u64_u32 v[18:19], s[0:1], s3, v22, v[18:19]
	v_mad_u64_u32 v[14:15], s[0:1], s2, v16, 0
	v_add_f64 v[109:110], v[117:118], v[113:114]
	v_add_f64 v[113:114], v[129:130], v[125:126]
	v_fma_f64 v[117:118], v[64:65], s[14:15], v[92:93]
	v_mov_b32_e32 v21, v18
	v_mad_u64_u32 v[15:16], s[0:1], s3, v16, v[15:16]
	v_or_b32_e32 v18, 0x50, v96
	v_lshlrev_b64 v[12:13], 4, v[20:21]
	v_mad_u64_u32 v[16:17], s[0:1], s2, v18, 0
	v_add_co_u32_e32 v12, vcc, v30, v12
	v_addc_co_u32_e32 v13, vcc, v31, v13, vcc
	v_add_f64 v[84:85], v[117:118], v[113:114]
	global_store_dwordx4 v[12:13], v[4:7], off
	v_add_f64 v[72:73], v[72:73], v[84:85]
	v_lshlrev_b64 v[4:5], 4, v[14:15]
	v_mov_b32_e32 v6, v17
	v_mad_u64_u32 v[6:7], s[0:1], s3, v18, v[6:7]
	v_add_co_u32_e32 v4, vcc, v30, v4
	v_addc_co_u32_e32 v5, vcc, v31, v5, vcc
	global_store_dwordx4 v[4:5], v[8:11], off
	v_mov_b32_e32 v17, v6
	v_add_u32_e32 v8, 0x5a, v96
	v_mad_u64_u32 v[6:7], s[0:1], s2, v8, 0
	v_add_u32_e32 v10, 0x64, v96
	v_lshlrev_b64 v[4:5], 4, v[16:17]
	v_mad_u64_u32 v[7:8], s[0:1], s3, v8, v[7:8]
	v_mad_u64_u32 v[8:9], s[0:1], s2, v10, 0
	v_add_co_u32_e32 v4, vcc, v30, v4
	v_addc_co_u32_e32 v5, vcc, v31, v5, vcc
	global_store_dwordx4 v[4:5], v[101:104], off
	v_lshlrev_b64 v[4:5], 4, v[6:7]
	v_mov_b32_e32 v6, v9
	v_mad_u64_u32 v[6:7], s[0:1], s3, v10, v[6:7]
	v_add_f64 v[2:3], v[56:57], v[72:73]
	v_add_co_u32_e32 v4, vcc, v30, v4
	v_addc_co_u32_e32 v5, vcc, v31, v5, vcc
	v_mov_b32_e32 v9, v6
	global_store_dwordx4 v[4:5], v[109:112], off
	v_lshlrev_b64 v[4:5], 4, v[8:9]
	v_add_co_u32_e32 v4, vcc, v30, v4
	v_addc_co_u32_e32 v5, vcc, v31, v5, vcc
	global_store_dwordx4 v[4:5], v[0:3], off
	s_endpgm
	.section	.rodata,"a",@progbits
	.p2align	6, 0x0
	.amdhsa_kernel fft_rtc_back_len110_factors_2_5_11_wgs_198_tpt_11_dp_ip_CI_sbrr_dirReg
		.amdhsa_group_segment_fixed_size 0
		.amdhsa_private_segment_fixed_size 0
		.amdhsa_kernarg_size 88
		.amdhsa_user_sgpr_count 6
		.amdhsa_user_sgpr_private_segment_buffer 1
		.amdhsa_user_sgpr_dispatch_ptr 0
		.amdhsa_user_sgpr_queue_ptr 0
		.amdhsa_user_sgpr_kernarg_segment_ptr 1
		.amdhsa_user_sgpr_dispatch_id 0
		.amdhsa_user_sgpr_flat_scratch_init 0
		.amdhsa_user_sgpr_private_segment_size 0
		.amdhsa_uses_dynamic_stack 0
		.amdhsa_system_sgpr_private_segment_wavefront_offset 0
		.amdhsa_system_sgpr_workgroup_id_x 1
		.amdhsa_system_sgpr_workgroup_id_y 0
		.amdhsa_system_sgpr_workgroup_id_z 0
		.amdhsa_system_sgpr_workgroup_info 0
		.amdhsa_system_vgpr_workitem_id 0
		.amdhsa_next_free_vgpr 139
		.amdhsa_next_free_sgpr 30
		.amdhsa_reserve_vcc 1
		.amdhsa_reserve_flat_scratch 0
		.amdhsa_float_round_mode_32 0
		.amdhsa_float_round_mode_16_64 0
		.amdhsa_float_denorm_mode_32 3
		.amdhsa_float_denorm_mode_16_64 3
		.amdhsa_dx10_clamp 1
		.amdhsa_ieee_mode 1
		.amdhsa_fp16_overflow 0
		.amdhsa_exception_fp_ieee_invalid_op 0
		.amdhsa_exception_fp_denorm_src 0
		.amdhsa_exception_fp_ieee_div_zero 0
		.amdhsa_exception_fp_ieee_overflow 0
		.amdhsa_exception_fp_ieee_underflow 0
		.amdhsa_exception_fp_ieee_inexact 0
		.amdhsa_exception_int_div_zero 0
	.end_amdhsa_kernel
	.text
.Lfunc_end0:
	.size	fft_rtc_back_len110_factors_2_5_11_wgs_198_tpt_11_dp_ip_CI_sbrr_dirReg, .Lfunc_end0-fft_rtc_back_len110_factors_2_5_11_wgs_198_tpt_11_dp_ip_CI_sbrr_dirReg
                                        ; -- End function
	.section	.AMDGPU.csdata,"",@progbits
; Kernel info:
; codeLenInByte = 7356
; NumSgprs: 34
; NumVgprs: 139
; ScratchSize: 0
; MemoryBound: 1
; FloatMode: 240
; IeeeMode: 1
; LDSByteSize: 0 bytes/workgroup (compile time only)
; SGPRBlocks: 4
; VGPRBlocks: 34
; NumSGPRsForWavesPerEU: 34
; NumVGPRsForWavesPerEU: 139
; Occupancy: 1
; WaveLimiterHint : 1
; COMPUTE_PGM_RSRC2:SCRATCH_EN: 0
; COMPUTE_PGM_RSRC2:USER_SGPR: 6
; COMPUTE_PGM_RSRC2:TRAP_HANDLER: 0
; COMPUTE_PGM_RSRC2:TGID_X_EN: 1
; COMPUTE_PGM_RSRC2:TGID_Y_EN: 0
; COMPUTE_PGM_RSRC2:TGID_Z_EN: 0
; COMPUTE_PGM_RSRC2:TIDIG_COMP_CNT: 0
	.type	__hip_cuid_b6d03237527bb500,@object ; @__hip_cuid_b6d03237527bb500
	.section	.bss,"aw",@nobits
	.globl	__hip_cuid_b6d03237527bb500
__hip_cuid_b6d03237527bb500:
	.byte	0                               ; 0x0
	.size	__hip_cuid_b6d03237527bb500, 1

	.ident	"AMD clang version 19.0.0git (https://github.com/RadeonOpenCompute/llvm-project roc-6.4.0 25133 c7fe45cf4b819c5991fe208aaa96edf142730f1d)"
	.section	".note.GNU-stack","",@progbits
	.addrsig
	.addrsig_sym __hip_cuid_b6d03237527bb500
	.amdgpu_metadata
---
amdhsa.kernels:
  - .args:
      - .actual_access:  read_only
        .address_space:  global
        .offset:         0
        .size:           8
        .value_kind:     global_buffer
      - .offset:         8
        .size:           8
        .value_kind:     by_value
      - .actual_access:  read_only
        .address_space:  global
        .offset:         16
        .size:           8
        .value_kind:     global_buffer
      - .actual_access:  read_only
        .address_space:  global
        .offset:         24
        .size:           8
        .value_kind:     global_buffer
      - .offset:         32
        .size:           8
        .value_kind:     by_value
      - .actual_access:  read_only
        .address_space:  global
        .offset:         40
        .size:           8
        .value_kind:     global_buffer
      - .actual_access:  read_only
        .address_space:  global
        .offset:         48
        .size:           8
        .value_kind:     global_buffer
      - .offset:         56
        .size:           4
        .value_kind:     by_value
      - .actual_access:  read_only
        .address_space:  global
        .offset:         64
        .size:           8
        .value_kind:     global_buffer
      - .actual_access:  read_only
        .address_space:  global
        .offset:         72
        .size:           8
        .value_kind:     global_buffer
      - .address_space:  global
        .offset:         80
        .size:           8
        .value_kind:     global_buffer
    .group_segment_fixed_size: 0
    .kernarg_segment_align: 8
    .kernarg_segment_size: 88
    .language:       OpenCL C
    .language_version:
      - 2
      - 0
    .max_flat_workgroup_size: 198
    .name:           fft_rtc_back_len110_factors_2_5_11_wgs_198_tpt_11_dp_ip_CI_sbrr_dirReg
    .private_segment_fixed_size: 0
    .sgpr_count:     34
    .sgpr_spill_count: 0
    .symbol:         fft_rtc_back_len110_factors_2_5_11_wgs_198_tpt_11_dp_ip_CI_sbrr_dirReg.kd
    .uniform_work_group_size: 1
    .uses_dynamic_stack: false
    .vgpr_count:     139
    .vgpr_spill_count: 0
    .wavefront_size: 64
amdhsa.target:   amdgcn-amd-amdhsa--gfx906
amdhsa.version:
  - 1
  - 2
...

	.end_amdgpu_metadata
